;; amdgpu-corpus repo=ROCm/rocFFT kind=compiled arch=gfx1030 opt=O3
	.text
	.amdgcn_target "amdgcn-amd-amdhsa--gfx1030"
	.amdhsa_code_object_version 6
	.protected	fft_rtc_fwd_len1980_factors_11_2_3_3_5_2_wgs_198_tpt_198_halfLds_dp_op_CI_CI_unitstride_sbrr_C2R_dirReg ; -- Begin function fft_rtc_fwd_len1980_factors_11_2_3_3_5_2_wgs_198_tpt_198_halfLds_dp_op_CI_CI_unitstride_sbrr_C2R_dirReg
	.globl	fft_rtc_fwd_len1980_factors_11_2_3_3_5_2_wgs_198_tpt_198_halfLds_dp_op_CI_CI_unitstride_sbrr_C2R_dirReg
	.p2align	8
	.type	fft_rtc_fwd_len1980_factors_11_2_3_3_5_2_wgs_198_tpt_198_halfLds_dp_op_CI_CI_unitstride_sbrr_C2R_dirReg,@function
fft_rtc_fwd_len1980_factors_11_2_3_3_5_2_wgs_198_tpt_198_halfLds_dp_op_CI_CI_unitstride_sbrr_C2R_dirReg: ; @fft_rtc_fwd_len1980_factors_11_2_3_3_5_2_wgs_198_tpt_198_halfLds_dp_op_CI_CI_unitstride_sbrr_C2R_dirReg
; %bb.0:
	s_clause 0x2
	s_load_dwordx4 s[12:15], s[4:5], 0x0
	s_load_dwordx4 s[8:11], s[4:5], 0x58
	;; [unrolled: 1-line block ×3, first 2 shown]
	v_mul_u32_u24_e32 v1, 0x14b, v0
	v_mov_b32_e32 v3, 0
	v_add_nc_u32_sdwa v5, s6, v1 dst_sel:DWORD dst_unused:UNUSED_PAD src0_sel:DWORD src1_sel:WORD_1
	v_mov_b32_e32 v1, 0
	v_mov_b32_e32 v6, v3
	v_mov_b32_e32 v2, 0
	s_waitcnt lgkmcnt(0)
	v_cmp_lt_u64_e64 s0, s[14:15], 2
	s_and_b32 vcc_lo, exec_lo, s0
	s_cbranch_vccnz .LBB0_8
; %bb.1:
	s_load_dwordx2 s[0:1], s[4:5], 0x10
	v_mov_b32_e32 v1, 0
	v_mov_b32_e32 v2, 0
	s_add_u32 s2, s18, 8
	s_addc_u32 s3, s19, 0
	s_add_u32 s6, s16, 8
	s_addc_u32 s7, s17, 0
	v_mov_b32_e32 v49, v2
	v_mov_b32_e32 v48, v1
	s_mov_b64 s[22:23], 1
	s_waitcnt lgkmcnt(0)
	s_add_u32 s20, s0, 8
	s_addc_u32 s21, s1, 0
.LBB0_2:                                ; =>This Inner Loop Header: Depth=1
	s_load_dwordx2 s[24:25], s[20:21], 0x0
                                        ; implicit-def: $vgpr50_vgpr51
	s_mov_b32 s0, exec_lo
	s_waitcnt lgkmcnt(0)
	v_or_b32_e32 v4, s25, v6
	v_cmpx_ne_u64_e32 0, v[3:4]
	s_xor_b32 s1, exec_lo, s0
	s_cbranch_execz .LBB0_4
; %bb.3:                                ;   in Loop: Header=BB0_2 Depth=1
	v_cvt_f32_u32_e32 v4, s24
	v_cvt_f32_u32_e32 v7, s25
	s_sub_u32 s0, 0, s24
	s_subb_u32 s26, 0, s25
	v_fmac_f32_e32 v4, 0x4f800000, v7
	v_rcp_f32_e32 v4, v4
	v_mul_f32_e32 v4, 0x5f7ffffc, v4
	v_mul_f32_e32 v7, 0x2f800000, v4
	v_trunc_f32_e32 v7, v7
	v_fmac_f32_e32 v4, 0xcf800000, v7
	v_cvt_u32_f32_e32 v7, v7
	v_cvt_u32_f32_e32 v4, v4
	v_mul_lo_u32 v8, s0, v7
	v_mul_hi_u32 v9, s0, v4
	v_mul_lo_u32 v10, s26, v4
	v_add_nc_u32_e32 v8, v9, v8
	v_mul_lo_u32 v9, s0, v4
	v_add_nc_u32_e32 v8, v8, v10
	v_mul_hi_u32 v10, v4, v9
	v_mul_lo_u32 v11, v4, v8
	v_mul_hi_u32 v12, v4, v8
	v_mul_hi_u32 v13, v7, v9
	v_mul_lo_u32 v9, v7, v9
	v_mul_hi_u32 v14, v7, v8
	v_mul_lo_u32 v8, v7, v8
	v_add_co_u32 v10, vcc_lo, v10, v11
	v_add_co_ci_u32_e32 v11, vcc_lo, 0, v12, vcc_lo
	v_add_co_u32 v9, vcc_lo, v10, v9
	v_add_co_ci_u32_e32 v9, vcc_lo, v11, v13, vcc_lo
	v_add_co_ci_u32_e32 v10, vcc_lo, 0, v14, vcc_lo
	v_add_co_u32 v8, vcc_lo, v9, v8
	v_add_co_ci_u32_e32 v9, vcc_lo, 0, v10, vcc_lo
	v_add_co_u32 v4, vcc_lo, v4, v8
	v_add_co_ci_u32_e32 v7, vcc_lo, v7, v9, vcc_lo
	v_mul_hi_u32 v8, s0, v4
	v_mul_lo_u32 v10, s26, v4
	v_mul_lo_u32 v9, s0, v7
	v_add_nc_u32_e32 v8, v8, v9
	v_mul_lo_u32 v9, s0, v4
	v_add_nc_u32_e32 v8, v8, v10
	v_mul_hi_u32 v10, v4, v9
	v_mul_lo_u32 v11, v4, v8
	v_mul_hi_u32 v12, v4, v8
	v_mul_hi_u32 v13, v7, v9
	v_mul_lo_u32 v9, v7, v9
	v_mul_hi_u32 v14, v7, v8
	v_mul_lo_u32 v8, v7, v8
	v_add_co_u32 v10, vcc_lo, v10, v11
	v_add_co_ci_u32_e32 v11, vcc_lo, 0, v12, vcc_lo
	v_add_co_u32 v9, vcc_lo, v10, v9
	v_add_co_ci_u32_e32 v9, vcc_lo, v11, v13, vcc_lo
	v_add_co_ci_u32_e32 v10, vcc_lo, 0, v14, vcc_lo
	v_add_co_u32 v8, vcc_lo, v9, v8
	v_add_co_ci_u32_e32 v9, vcc_lo, 0, v10, vcc_lo
	v_add_co_u32 v4, vcc_lo, v4, v8
	v_add_co_ci_u32_e32 v11, vcc_lo, v7, v9, vcc_lo
	v_mul_hi_u32 v13, v5, v4
	v_mad_u64_u32 v[9:10], null, v6, v4, 0
	v_mad_u64_u32 v[7:8], null, v5, v11, 0
	;; [unrolled: 1-line block ×3, first 2 shown]
	v_add_co_u32 v4, vcc_lo, v13, v7
	v_add_co_ci_u32_e32 v7, vcc_lo, 0, v8, vcc_lo
	v_add_co_u32 v4, vcc_lo, v4, v9
	v_add_co_ci_u32_e32 v4, vcc_lo, v7, v10, vcc_lo
	v_add_co_ci_u32_e32 v7, vcc_lo, 0, v12, vcc_lo
	v_add_co_u32 v4, vcc_lo, v4, v11
	v_add_co_ci_u32_e32 v9, vcc_lo, 0, v7, vcc_lo
	v_mul_lo_u32 v10, s25, v4
	v_mad_u64_u32 v[7:8], null, s24, v4, 0
	v_mul_lo_u32 v11, s24, v9
	v_sub_co_u32 v7, vcc_lo, v5, v7
	v_add3_u32 v8, v8, v11, v10
	v_sub_nc_u32_e32 v10, v6, v8
	v_subrev_co_ci_u32_e64 v10, s0, s25, v10, vcc_lo
	v_add_co_u32 v11, s0, v4, 2
	v_add_co_ci_u32_e64 v12, s0, 0, v9, s0
	v_sub_co_u32 v13, s0, v7, s24
	v_sub_co_ci_u32_e32 v8, vcc_lo, v6, v8, vcc_lo
	v_subrev_co_ci_u32_e64 v10, s0, 0, v10, s0
	v_cmp_le_u32_e32 vcc_lo, s24, v13
	v_cmp_eq_u32_e64 s0, s25, v8
	v_cndmask_b32_e64 v13, 0, -1, vcc_lo
	v_cmp_le_u32_e32 vcc_lo, s25, v10
	v_cndmask_b32_e64 v14, 0, -1, vcc_lo
	v_cmp_le_u32_e32 vcc_lo, s24, v7
	;; [unrolled: 2-line block ×3, first 2 shown]
	v_cndmask_b32_e64 v15, 0, -1, vcc_lo
	v_cmp_eq_u32_e32 vcc_lo, s25, v10
	v_cndmask_b32_e64 v7, v15, v7, s0
	v_cndmask_b32_e32 v10, v14, v13, vcc_lo
	v_add_co_u32 v13, vcc_lo, v4, 1
	v_add_co_ci_u32_e32 v14, vcc_lo, 0, v9, vcc_lo
	v_cmp_ne_u32_e32 vcc_lo, 0, v10
	v_cndmask_b32_e32 v8, v14, v12, vcc_lo
	v_cndmask_b32_e32 v10, v13, v11, vcc_lo
	v_cmp_ne_u32_e32 vcc_lo, 0, v7
	v_cndmask_b32_e32 v51, v9, v8, vcc_lo
	v_cndmask_b32_e32 v50, v4, v10, vcc_lo
.LBB0_4:                                ;   in Loop: Header=BB0_2 Depth=1
	s_andn2_saveexec_b32 s0, s1
	s_cbranch_execz .LBB0_6
; %bb.5:                                ;   in Loop: Header=BB0_2 Depth=1
	v_cvt_f32_u32_e32 v4, s24
	s_sub_i32 s1, 0, s24
	v_mov_b32_e32 v51, v3
	v_rcp_iflag_f32_e32 v4, v4
	v_mul_f32_e32 v4, 0x4f7ffffe, v4
	v_cvt_u32_f32_e32 v4, v4
	v_mul_lo_u32 v7, s1, v4
	v_mul_hi_u32 v7, v4, v7
	v_add_nc_u32_e32 v4, v4, v7
	v_mul_hi_u32 v4, v5, v4
	v_mul_lo_u32 v7, v4, s24
	v_add_nc_u32_e32 v8, 1, v4
	v_sub_nc_u32_e32 v7, v5, v7
	v_subrev_nc_u32_e32 v9, s24, v7
	v_cmp_le_u32_e32 vcc_lo, s24, v7
	v_cndmask_b32_e32 v7, v7, v9, vcc_lo
	v_cndmask_b32_e32 v4, v4, v8, vcc_lo
	v_cmp_le_u32_e32 vcc_lo, s24, v7
	v_add_nc_u32_e32 v8, 1, v4
	v_cndmask_b32_e32 v50, v4, v8, vcc_lo
.LBB0_6:                                ;   in Loop: Header=BB0_2 Depth=1
	s_or_b32 exec_lo, exec_lo, s0
	v_mul_lo_u32 v4, v51, s24
	v_mul_lo_u32 v9, v50, s25
	s_load_dwordx2 s[0:1], s[6:7], 0x0
	v_mad_u64_u32 v[7:8], null, v50, s24, 0
	s_load_dwordx2 s[24:25], s[2:3], 0x0
	s_add_u32 s22, s22, 1
	s_addc_u32 s23, s23, 0
	s_add_u32 s2, s2, 8
	s_addc_u32 s3, s3, 0
	s_add_u32 s6, s6, 8
	v_add3_u32 v4, v8, v9, v4
	v_sub_co_u32 v5, vcc_lo, v5, v7
	s_addc_u32 s7, s7, 0
	s_add_u32 s20, s20, 8
	v_sub_co_ci_u32_e32 v4, vcc_lo, v6, v4, vcc_lo
	s_addc_u32 s21, s21, 0
	s_waitcnt lgkmcnt(0)
	v_mul_lo_u32 v6, s0, v4
	v_mul_lo_u32 v7, s1, v5
	v_mad_u64_u32 v[1:2], null, s0, v5, v[1:2]
	v_mul_lo_u32 v4, s24, v4
	v_mul_lo_u32 v8, s25, v5
	v_mad_u64_u32 v[48:49], null, s24, v5, v[48:49]
	v_cmp_ge_u64_e64 s0, s[22:23], s[14:15]
	v_add3_u32 v2, v7, v2, v6
	v_add3_u32 v49, v8, v49, v4
	s_and_b32 vcc_lo, exec_lo, s0
	s_cbranch_vccnz .LBB0_9
; %bb.7:                                ;   in Loop: Header=BB0_2 Depth=1
	v_mov_b32_e32 v5, v50
	v_mov_b32_e32 v6, v51
	s_branch .LBB0_2
.LBB0_8:
	v_mov_b32_e32 v49, v2
	v_mov_b32_e32 v51, v6
	;; [unrolled: 1-line block ×4, first 2 shown]
.LBB0_9:
	s_load_dwordx2 s[0:1], s[4:5], 0x28
	v_mul_hi_u32 v3, 0x14afd6b, v0
	s_lshl_b64 s[4:5], s[14:15], 3
                                        ; implicit-def: $vgpr52
                                        ; implicit-def: $vgpr4_vgpr5
	s_add_u32 s2, s18, s4
	s_addc_u32 s3, s19, s5
	s_waitcnt lgkmcnt(0)
	v_cmp_gt_u64_e32 vcc_lo, s[0:1], v[50:51]
	v_cmp_le_u64_e64 s0, s[0:1], v[50:51]
	s_and_saveexec_b32 s1, s0
	s_xor_b32 s0, exec_lo, s1
; %bb.10:
	v_mul_u32_u24_e32 v1, 0xc6, v3
	v_mov_b32_e32 v53, 0
                                        ; implicit-def: $vgpr3
	v_sub_nc_u32_e32 v52, v0, v1
                                        ; implicit-def: $vgpr0
                                        ; implicit-def: $vgpr1_vgpr2
	v_mov_b32_e32 v4, v52
	v_mov_b32_e32 v5, v53
; %bb.11:
	s_or_saveexec_b32 s1, s0
	s_load_dwordx2 s[2:3], s[2:3], 0x0
	s_xor_b32 exec_lo, exec_lo, s1
	s_cbranch_execz .LBB0_15
; %bb.12:
	s_add_u32 s4, s16, s4
	s_addc_u32 s5, s17, s5
	v_lshlrev_b64 v[1:2], 4, v[1:2]
	s_load_dwordx2 s[4:5], s[4:5], 0x0
	v_mov_b32_e32 v53, 0
	s_waitcnt lgkmcnt(0)
	v_mul_lo_u32 v6, s5, v50
	v_mul_lo_u32 v7, s4, v51
	v_mad_u64_u32 v[4:5], null, s4, v50, 0
	s_mov_b32 s4, exec_lo
	v_add3_u32 v5, v5, v7, v6
	v_mul_u32_u24_e32 v6, 0xc6, v3
	v_lshlrev_b64 v[3:4], 4, v[4:5]
	v_sub_nc_u32_e32 v52, v0, v6
	v_lshlrev_b32_e32 v46, 4, v52
	v_add_co_u32 v0, s0, s8, v3
	v_add_co_ci_u32_e64 v3, s0, s9, v4, s0
	v_add_co_u32 v0, s0, v0, v1
	v_add_co_ci_u32_e64 v1, s0, v3, v2, s0
	v_add_co_u32 v2, s0, v0, v46
	v_add_co_ci_u32_e64 v3, s0, 0, v1, s0
	v_add_co_u32 v4, s0, 0x800, v2
	v_add_co_ci_u32_e64 v5, s0, 0, v3, s0
	v_add_co_u32 v14, s0, 0x1800, v2
	v_add_co_ci_u32_e64 v15, s0, 0, v3, s0
	v_add_co_u32 v18, s0, 0x2000, v2
	v_add_co_ci_u32_e64 v19, s0, 0, v3, s0
	v_add_co_u32 v22, s0, 0x3000, v2
	v_add_co_ci_u32_e64 v23, s0, 0, v3, s0
	v_add_co_u32 v26, s0, 0x3800, v2
	v_add_co_ci_u32_e64 v27, s0, 0, v3, s0
	v_add_co_u32 v30, s0, 0x4800, v2
	v_add_co_ci_u32_e64 v31, s0, 0, v3, s0
	v_add_co_u32 v34, s0, 0x5000, v2
	v_add_co_ci_u32_e64 v35, s0, 0, v3, s0
	v_add_co_u32 v38, s0, 0x6000, v2
	v_add_co_ci_u32_e64 v39, s0, 0, v3, s0
	v_add_co_u32 v42, s0, 0x6800, v2
	v_add_co_ci_u32_e64 v43, s0, 0, v3, s0
	s_clause 0x9
	global_load_dwordx4 v[6:9], v[2:3], off
	global_load_dwordx4 v[10:13], v[4:5], off offset:1120
	global_load_dwordx4 v[14:17], v[14:15], off offset:192
	global_load_dwordx4 v[18:21], v[18:19], off offset:1312
	global_load_dwordx4 v[22:25], v[22:23], off offset:384
	global_load_dwordx4 v[26:29], v[26:27], off offset:1504
	global_load_dwordx4 v[30:33], v[30:31], off offset:576
	global_load_dwordx4 v[34:37], v[34:35], off offset:1696
	global_load_dwordx4 v[38:41], v[38:39], off offset:768
	global_load_dwordx4 v[42:45], v[42:43], off offset:1888
	v_mov_b32_e32 v4, v52
	v_add_nc_u32_e32 v2, 0, v46
	v_mov_b32_e32 v5, v53
	s_waitcnt vmcnt(9)
	ds_write_b128 v2, v[6:9]
	s_waitcnt vmcnt(8)
	ds_write_b128 v2, v[10:13] offset:3168
	s_waitcnt vmcnt(7)
	ds_write_b128 v2, v[14:17] offset:6336
	;; [unrolled: 2-line block ×9, first 2 shown]
	v_cmpx_eq_u32_e32 0xc5, v52
	s_cbranch_execz .LBB0_14
; %bb.13:
	v_add_co_u32 v0, s0, 0x7800, v0
	v_add_co_ci_u32_e64 v1, s0, 0, v1, s0
	v_mov_b32_e32 v4, 0xc5
	v_mov_b32_e32 v5, 0
	;; [unrolled: 1-line block ×3, first 2 shown]
	global_load_dwordx4 v[0:3], v[0:1], off offset:960
	s_waitcnt vmcnt(0)
	ds_write_b128 v53, v[0:3] offset:31680
.LBB0_14:
	s_or_b32 exec_lo, exec_lo, s4
.LBB0_15:
	s_or_b32 exec_lo, exec_lo, s1
	v_lshlrev_b32_e32 v0, 4, v52
	s_waitcnt lgkmcnt(0)
	s_barrier
	buffer_gl0_inv
	v_lshlrev_b64 v[53:54], 4, v[4:5]
	v_add_nc_u32_e32 v129, 0, v0
	v_sub_nc_u32_e32 v10, 0, v0
	s_add_u32 s1, s12, 0x7b10
	s_addc_u32 s4, s13, 0
	s_mov_b32 s5, exec_lo
	ds_read_b64 v[6:7], v129
	ds_read_b64 v[8:9], v10 offset:31680
	s_waitcnt lgkmcnt(0)
	v_add_f64 v[0:1], v[6:7], v[8:9]
	v_add_f64 v[2:3], v[6:7], -v[8:9]
	v_cmpx_ne_u32_e32 0, v52
	s_xor_b32 s5, exec_lo, s5
	s_cbranch_execz .LBB0_17
; %bb.16:
	v_add_co_u32 v0, s0, s1, v53
	v_add_co_ci_u32_e64 v1, s0, s4, v54, s0
	v_add_f64 v[13:14], v[6:7], v[8:9]
	v_add_f64 v[8:9], v[6:7], -v[8:9]
	global_load_dwordx4 v[2:5], v[0:1], off
	ds_read_b64 v[0:1], v10 offset:31688
	ds_read_b64 v[11:12], v129 offset:8
	s_waitcnt lgkmcnt(0)
	v_add_f64 v[6:7], v[0:1], v[11:12]
	v_add_f64 v[0:1], v[11:12], -v[0:1]
	s_waitcnt vmcnt(0)
	v_fma_f64 v[11:12], v[8:9], v[4:5], v[13:14]
	v_fma_f64 v[13:14], -v[8:9], v[4:5], v[13:14]
	v_fma_f64 v[15:16], v[6:7], v[4:5], -v[0:1]
	v_fma_f64 v[17:18], v[6:7], v[4:5], v[0:1]
	v_fma_f64 v[0:1], -v[6:7], v[2:3], v[11:12]
	v_fma_f64 v[4:5], v[6:7], v[2:3], v[13:14]
	v_fma_f64 v[6:7], v[8:9], v[2:3], v[15:16]
	;; [unrolled: 1-line block ×3, first 2 shown]
	ds_write_b128 v10, v[4:7] offset:31680
.LBB0_17:
	s_andn2_saveexec_b32 s0, s5
	s_cbranch_execz .LBB0_19
; %bb.18:
	v_mov_b32_e32 v8, 0
	ds_read_b128 v[4:7], v8 offset:15840
	s_waitcnt lgkmcnt(0)
	v_add_f64 v[4:5], v[4:5], v[4:5]
	v_mul_f64 v[6:7], v[6:7], -2.0
	ds_write_b128 v8, v[4:7] offset:15840
.LBB0_19:
	s_or_b32 exec_lo, exec_lo, s0
	v_add_nc_u32_e32 v65, 0xc6, v52
	v_mov_b32_e32 v66, 0
	v_add_nc_u32_e32 v67, 0x18c, v52
	v_add_nc_u32_e32 v63, 0x252, v52
	ds_write_b128 v129, v[0:3]
	s_mov_b32 s6, 0x8764f0ba
	v_lshlrev_b64 v[55:56], 4, v[65:66]
	v_mov_b32_e32 v68, v66
	v_mov_b32_e32 v64, v66
	;; [unrolled: 1-line block ×3, first 2 shown]
	s_mov_b32 s14, 0x8eee2c13
	s_mov_b32 s7, 0x3feaeb8c
	v_add_co_u32 v4, s0, s1, v55
	v_add_co_ci_u32_e64 v5, s0, s4, v56, s0
	v_lshlrev_b64 v[57:58], 4, v[67:68]
	v_lshlrev_b64 v[59:60], 4, v[63:64]
	v_add_nc_u32_e32 v68, 0x318, v52
	global_load_dwordx4 v[4:7], v[4:5], off
	s_mov_b32 s15, 0xbfed1bb4
	s_mov_b32 s16, 0xd9c712b6
	v_add_co_u32 v8, s0, s1, v57
	v_add_co_ci_u32_e64 v9, s0, s4, v58, s0
	v_lshlrev_b64 v[61:62], 4, v[68:69]
	s_mov_b32 s8, 0x43842ef
	s_mov_b32 s17, 0x3fda9628
	global_load_dwordx4 v[11:14], v[8:9], off
	v_add_co_u32 v8, s0, s1, v59
	v_add_co_ci_u32_e64 v9, s0, s4, v60, s0
	s_mov_b32 s9, 0xbfefac9e
	s_mov_b32 s20, 0x640f44db
	s_mov_b32 s18, 0xbb3a28a1
	global_load_dwordx4 v[15:18], v[8:9], off
	v_add_co_u32 v8, s0, s1, v61
	v_add_co_ci_u32_e64 v9, s0, s4, v62, s0
	ds_read_b128 v[0:3], v129 offset:3168
	ds_read_b128 v[19:22], v10 offset:28512
	s_mov_b32 s4, 0xf8bb580b
	s_mov_b32 s5, 0xbfe14ced
	global_load_dwordx4 v[23:26], v[8:9], off
	s_mov_b32 s21, 0xbfc2375f
	s_mov_b32 s19, 0xbfe82f19
	;; [unrolled: 1-line block ×8, first 2 shown]
	s_mov_b32 s33, exec_lo
	s_waitcnt lgkmcnt(0)
	v_add_f64 v[8:9], v[0:1], v[19:20]
	v_add_f64 v[27:28], v[21:22], v[2:3]
	v_add_f64 v[19:20], v[0:1], -v[19:20]
	v_add_f64 v[0:1], v[2:3], -v[21:22]
	s_waitcnt vmcnt(3)
	v_fma_f64 v[2:3], v[19:20], v[6:7], v[8:9]
	v_fma_f64 v[21:22], v[27:28], v[6:7], v[0:1]
	v_fma_f64 v[8:9], -v[19:20], v[6:7], v[8:9]
	v_fma_f64 v[29:30], v[27:28], v[6:7], -v[0:1]
	v_fma_f64 v[0:1], -v[27:28], v[4:5], v[2:3]
	v_fma_f64 v[2:3], v[19:20], v[4:5], v[21:22]
	v_fma_f64 v[6:7], v[27:28], v[4:5], v[8:9]
	v_fma_f64 v[8:9], v[19:20], v[4:5], v[29:30]
	ds_write_b128 v129, v[0:3] offset:3168
	ds_write_b128 v10, v[6:9] offset:28512
	ds_read_b128 v[0:3], v129 offset:6336
	ds_read_b128 v[4:7], v10 offset:25344
	s_waitcnt lgkmcnt(0)
	v_add_f64 v[8:9], v[0:1], v[4:5]
	v_add_f64 v[19:20], v[6:7], v[2:3]
	v_add_f64 v[21:22], v[0:1], -v[4:5]
	v_add_f64 v[0:1], v[2:3], -v[6:7]
	s_waitcnt vmcnt(2)
	v_fma_f64 v[2:3], v[21:22], v[13:14], v[8:9]
	v_fma_f64 v[4:5], v[19:20], v[13:14], v[0:1]
	v_fma_f64 v[6:7], -v[21:22], v[13:14], v[8:9]
	v_fma_f64 v[8:9], v[19:20], v[13:14], -v[0:1]
	v_fma_f64 v[0:1], -v[19:20], v[11:12], v[2:3]
	v_fma_f64 v[2:3], v[21:22], v[11:12], v[4:5]
	v_fma_f64 v[4:5], v[19:20], v[11:12], v[6:7]
	v_fma_f64 v[6:7], v[21:22], v[11:12], v[8:9]
	ds_write_b128 v129, v[0:3] offset:6336
	ds_write_b128 v10, v[4:7] offset:25344
	ds_read_b128 v[0:3], v129 offset:9504
	ds_read_b128 v[4:7], v10 offset:22176
	;; [unrolled: 18-line block ×3, first 2 shown]
	s_waitcnt lgkmcnt(0)
	v_add_f64 v[8:9], v[0:1], v[4:5]
	v_add_f64 v[11:12], v[6:7], v[2:3]
	v_add_f64 v[13:14], v[0:1], -v[4:5]
	v_add_f64 v[0:1], v[2:3], -v[6:7]
	s_waitcnt vmcnt(0)
	v_fma_f64 v[2:3], v[13:14], v[25:26], v[8:9]
	v_fma_f64 v[4:5], v[11:12], v[25:26], v[0:1]
	v_fma_f64 v[6:7], -v[13:14], v[25:26], v[8:9]
	v_fma_f64 v[8:9], v[11:12], v[25:26], -v[0:1]
	v_fma_f64 v[0:1], -v[11:12], v[23:24], v[2:3]
	v_fma_f64 v[2:3], v[13:14], v[23:24], v[4:5]
	v_fma_f64 v[4:5], v[11:12], v[23:24], v[6:7]
	;; [unrolled: 1-line block ×3, first 2 shown]
	ds_write_b128 v129, v[0:3] offset:12672
	ds_write_b128 v10, v[4:7] offset:19008
	s_waitcnt lgkmcnt(0)
	s_barrier
	buffer_gl0_inv
	s_barrier
	buffer_gl0_inv
	ds_read_b128 v[4:7], v129 offset:28800
	ds_read_b128 v[40:43], v129 offset:2880
	;; [unrolled: 1-line block ×3, first 2 shown]
	ds_read_b128 v[16:19], v129
	ds_read_b128 v[44:47], v129 offset:5760
	ds_read_b128 v[28:31], v129 offset:8640
	;; [unrolled: 1-line block ×7, first 2 shown]
	s_waitcnt lgkmcnt(0)
	s_barrier
	buffer_gl0_inv
	v_add_f64 v[125:126], v[42:43], -v[6:7]
	v_add_f64 v[117:118], v[40:41], -v[4:5]
	v_add_f64 v[119:120], v[40:41], v[4:5]
	v_add_f64 v[111:112], v[46:47], -v[10:11]
	v_add_f64 v[127:128], v[42:43], v[6:7]
	;; [unrolled: 2-line block ×3, first 2 shown]
	v_add_f64 v[113:114], v[46:47], v[10:11]
	v_add_f64 v[91:92], v[30:31], -v[14:15]
	v_add_f64 v[69:70], v[28:29], -v[12:13]
	v_add_f64 v[87:88], v[28:29], v[12:13]
	v_add_f64 v[115:116], v[30:31], v[14:15]
	v_add_f64 v[95:96], v[38:39], -v[22:23]
	v_add_f64 v[71:72], v[36:37], -v[20:21]
	v_add_f64 v[77:78], v[36:37], v[20:21]
	;; [unrolled: 4-line block ×3, first 2 shown]
	v_mul_f64 v[121:122], v[125:126], s[4:5]
	v_mul_f64 v[123:124], v[117:118], s[4:5]
	;; [unrolled: 1-line block ×9, first 2 shown]
	v_fma_f64 v[0:1], v[119:120], s[6:7], v[121:122]
	v_fma_f64 v[2:3], v[127:128], s[6:7], -v[123:124]
	v_fma_f64 v[79:80], v[89:90], s[16:17], v[99:100]
	v_fma_f64 v[83:84], v[113:114], s[16:17], -v[105:106]
	;; [unrolled: 2-line block ×4, first 2 shown]
	v_add_f64 v[0:1], v[16:17], v[0:1]
	v_add_f64 v[2:3], v[18:19], v[2:3]
	;; [unrolled: 1-line block ×5, first 2 shown]
	v_mul_f64 v[83:84], v[81:82], s[24:25]
	v_add_f64 v[0:1], v[130:131], v[0:1]
	v_add_f64 v[2:3], v[132:133], v[2:3]
	v_fma_f64 v[132:133], v[103:104], s[26:27], -v[85:86]
	v_fma_f64 v[130:131], v[79:80], s[26:27], v[83:84]
	v_add_f64 v[0:1], v[134:135], v[0:1]
	v_add_f64 v[2:3], v[136:137], v[2:3]
	v_add_f64 v[0:1], v[130:131], v[0:1]
	v_add_f64 v[2:3], v[132:133], v[2:3]
	v_cmpx_gt_u32_e32 0xb4, v52
	s_cbranch_execz .LBB0_21
; %bb.20:
	v_add_f64 v[40:41], v[16:17], v[40:41]
	v_add_f64 v[42:43], v[18:19], v[42:43]
	v_mul_f64 v[132:133], v[125:126], s[24:25]
	s_mov_b32 s31, 0x3fe14ced
	s_mov_b32 s30, s4
	v_mul_f64 v[130:131], v[127:128], s[26:27]
	v_mul_f64 v[134:135], v[119:120], s[6:7]
	;; [unrolled: 1-line block ×6, first 2 shown]
	s_mov_b32 s29, 0x3fefac9e
	s_mov_b32 s28, s8
	;; [unrolled: 1-line block ×6, first 2 shown]
	v_mul_f64 v[136:137], v[127:128], s[6:7]
	v_mul_f64 v[142:143], v[127:128], s[20:21]
	v_mul_f64 v[144:145], v[125:126], s[8:9]
	v_mul_f64 v[127:128], v[127:128], s[16:17]
	v_mul_f64 v[125:126], v[125:126], s[14:15]
	v_add_f64 v[40:41], v[40:41], v[44:45]
	v_add_f64 v[42:43], v[42:43], v[46:47]
	v_fma_f64 v[164:165], v[119:120], s[26:27], v[132:133]
	v_fma_f64 v[132:133], v[119:120], s[26:27], -v[132:133]
	v_mul_f64 v[46:47], v[113:114], s[20:21]
	v_mul_f64 v[148:149], v[91:92], s[18:19]
	v_fma_f64 v[150:151], v[117:118], s[36:37], v[130:131]
	v_mul_f64 v[162:163], v[111:112], s[28:29]
	v_fma_f64 v[130:131], v[117:118], s[24:25], v[130:131]
	v_fma_f64 v[166:167], v[117:118], s[0:1], v[138:139]
	;; [unrolled: 1-line block ×4, first 2 shown]
	v_add_f64 v[121:122], v[134:135], -v[121:122]
	v_fma_f64 v[134:135], v[73:74], s[30:31], v[146:147]
	v_fma_f64 v[146:147], v[89:90], s[6:7], v[160:161]
	v_fma_f64 v[160:161], v[89:90], s[6:7], -v[160:161]
	v_fma_f64 v[138:139], v[117:118], s[18:19], v[138:139]
	v_fma_f64 v[140:141], v[119:120], s[22:23], -v[140:141]
	s_mov_b32 s35, 0x3fed1bb4
	s_mov_b32 s34, s14
	v_mul_f64 v[152:153], v[115:116], s[6:7]
	v_fma_f64 v[170:171], v[117:118], s[28:29], v[142:143]
	v_add_f64 v[28:29], v[40:41], v[28:29]
	v_add_f64 v[30:31], v[42:43], v[30:31]
	v_fma_f64 v[40:41], v[119:120], s[20:21], v[144:145]
	v_add_f64 v[132:133], v[16:17], v[132:133]
	v_fma_f64 v[42:43], v[117:118], s[8:9], v[142:143]
	v_fma_f64 v[142:143], v[119:120], s[20:21], -v[144:145]
	v_fma_f64 v[144:145], v[117:118], s[34:35], v[127:128]
	v_fma_f64 v[117:118], v[117:118], s[14:15], v[127:128]
	;; [unrolled: 1-line block ×3, first 2 shown]
	v_fma_f64 v[119:120], v[119:120], s[16:17], -v[125:126]
	v_mul_f64 v[125:126], v[95:96], s[34:35]
	v_add_f64 v[123:124], v[123:124], v[136:137]
	v_fma_f64 v[136:137], v[73:74], s[8:9], v[46:47]
	v_add_f64 v[130:131], v[18:19], v[130:131]
	v_add_f64 v[166:167], v[18:19], v[166:167]
	v_mul_f64 v[44:45], v[115:116], s[22:23]
	v_mul_f64 v[154:155], v[91:92], s[4:5]
	v_add_f64 v[150:151], v[18:19], v[150:151]
	v_fma_f64 v[46:47], v[73:74], s[28:29], v[46:47]
	v_add_f64 v[138:139], v[18:19], v[138:139]
	v_add_f64 v[140:141], v[16:17], v[140:141]
	v_mul_f64 v[158:159], v[113:114], s[26:27]
	v_add_f64 v[28:29], v[28:29], v[36:37]
	v_add_f64 v[30:31], v[30:31], v[38:39]
	v_fma_f64 v[36:37], v[89:90], s[20:21], v[162:163]
	v_add_f64 v[38:39], v[16:17], v[168:169]
	v_add_f64 v[132:133], v[160:161], v[132:133]
	v_fma_f64 v[162:163], v[89:90], s[20:21], -v[162:163]
	v_add_f64 v[164:165], v[16:17], v[164:165]
	v_add_f64 v[170:171], v[18:19], v[170:171]
	v_add_f64 v[42:43], v[18:19], v[42:43]
	v_add_f64 v[144:145], v[18:19], v[144:145]
	v_add_f64 v[117:118], v[18:19], v[117:118]
	v_add_f64 v[18:19], v[18:19], v[123:124]
	v_fma_f64 v[123:124], v[77:78], s[16:17], -v[125:126]
	v_add_f64 v[130:131], v[134:135], v[130:131]
	v_add_f64 v[134:135], v[136:137], v[166:167]
	v_mul_f64 v[156:157], v[107:108], s[16:17]
	v_fma_f64 v[168:169], v[69:70], s[0:1], v[44:45]
	v_add_f64 v[150:151], v[172:173], v[150:151]
	v_fma_f64 v[172:173], v[87:88], s[22:23], v[148:149]
	v_fma_f64 v[44:45], v[69:70], s[18:19], v[44:45]
	v_add_f64 v[46:47], v[46:47], v[138:139]
	v_mul_f64 v[138:139], v[95:96], s[24:25]
	v_add_f64 v[28:29], v[28:29], v[32:33]
	v_fma_f64 v[32:33], v[87:88], s[22:23], -v[148:149]
	v_add_f64 v[30:31], v[30:31], v[34:35]
	v_add_f64 v[34:35], v[36:37], v[38:39]
	v_fma_f64 v[36:37], v[69:70], s[30:31], v[152:153]
	v_mul_f64 v[38:39], v[107:108], s[26:27]
	v_fma_f64 v[148:149], v[69:70], s[4:5], v[152:153]
	v_add_f64 v[140:141], v[162:163], v[140:141]
	v_fma_f64 v[152:153], v[87:88], s[6:7], -v[154:155]
	v_add_f64 v[146:147], v[146:147], v[164:165]
	v_fma_f64 v[136:137], v[87:88], s[6:7], v[154:155]
	v_fma_f64 v[160:161], v[73:74], s[24:25], v[158:159]
	v_mul_f64 v[162:163], v[115:116], s[16:17]
	v_fma_f64 v[164:165], v[77:78], s[16:17], v[125:126]
	v_mul_f64 v[166:167], v[111:112], s[36:37]
	v_mul_f64 v[111:112], v[111:112], s[18:19]
	v_add_f64 v[40:41], v[16:17], v[40:41]
	v_add_f64 v[142:143], v[16:17], v[142:143]
	;; [unrolled: 1-line block ×4, first 2 shown]
	v_fma_f64 v[130:131], v[71:72], s[34:35], v[156:157]
	v_add_f64 v[119:120], v[16:17], v[119:120]
	v_add_f64 v[24:25], v[28:29], v[24:25]
	;; [unrolled: 1-line block ×4, first 2 shown]
	v_mul_f64 v[30:31], v[113:114], s[22:23]
	v_add_f64 v[36:37], v[36:37], v[134:135]
	v_fma_f64 v[125:126], v[71:72], s[36:37], v[38:39]
	v_mul_f64 v[113:114], v[113:114], s[16:17]
	v_fma_f64 v[132:133], v[77:78], s[26:27], -v[138:139]
	v_add_f64 v[28:29], v[152:153], v[140:141]
	v_add_f64 v[16:17], v[16:17], v[121:122]
	;; [unrolled: 1-line block ×4, first 2 shown]
	v_fma_f64 v[136:137], v[69:70], s[14:15], v[162:163]
	v_add_f64 v[150:151], v[168:169], v[150:151]
	v_fma_f64 v[140:141], v[89:90], s[26:27], v[166:167]
	v_fma_f64 v[154:155], v[71:72], s[14:15], v[156:157]
	v_add_f64 v[46:47], v[148:149], v[46:47]
	v_fma_f64 v[148:149], v[89:90], s[26:27], -v[166:167]
	v_fma_f64 v[121:122], v[77:78], s[26:27], v[138:139]
	v_fma_f64 v[38:39], v[71:72], s[24:25], v[38:39]
	v_add_f64 v[44:45], v[130:131], v[44:45]
	v_fma_f64 v[130:131], v[73:74], s[36:37], v[158:159]
	v_add_f64 v[20:21], v[24:25], v[20:21]
	v_add_f64 v[32:33], v[123:124], v[32:33]
	v_mul_f64 v[123:124], v[89:90], s[16:17]
	v_add_f64 v[22:23], v[26:27], v[22:23]
	v_mul_f64 v[26:27], v[115:116], s[20:21]
	v_add_f64 v[36:37], v[125:126], v[36:37]
	v_mul_f64 v[125:126], v[87:88], s[20:21]
	v_add_f64 v[105:106], v[105:106], v[113:114]
	v_fma_f64 v[24:25], v[73:74], s[18:19], v[30:31]
	v_add_f64 v[132:133], v[132:133], v[28:29]
	v_fma_f64 v[28:29], v[89:90], s[22:23], -v[111:112]
	v_mul_f64 v[115:116], v[115:116], s[26:27]
	v_fma_f64 v[89:90], v[89:90], s[22:23], v[111:112]
	v_mul_f64 v[111:112], v[91:92], s[36:37]
	v_fma_f64 v[30:31], v[73:74], s[0:1], v[30:31]
	v_mul_f64 v[91:92], v[91:92], s[34:35]
	v_add_f64 v[134:135], v[136:137], v[134:135]
	v_mul_f64 v[136:137], v[77:78], s[22:23]
	v_add_f64 v[40:41], v[140:141], v[40:41]
	;; [unrolled: 2-line block ×3, first 2 shown]
	v_add_f64 v[42:43], v[130:131], v[42:43]
	v_fma_f64 v[150:151], v[69:70], s[34:35], v[162:163]
	v_add_f64 v[142:143], v[148:149], v[142:143]
	v_add_f64 v[99:100], v[123:124], -v[99:100]
	v_add_f64 v[14:15], v[22:23], v[14:15]
	v_add_f64 v[26:27], v[109:110], v[26:27]
	;; [unrolled: 1-line block ×3, first 2 shown]
	v_add_f64 v[101:102], v[125:126], -v[101:102]
	v_add_f64 v[18:19], v[105:106], v[18:19]
	v_add_f64 v[24:25], v[24:25], v[117:118]
	v_mul_f64 v[105:106], v[95:96], s[4:5]
	v_add_f64 v[28:29], v[28:29], v[119:120]
	v_mul_f64 v[119:120], v[107:108], s[6:7]
	v_fma_f64 v[109:110], v[69:70], s[36:37], v[115:116]
	v_mul_f64 v[107:108], v[107:108], s[20:21]
	v_mul_f64 v[95:96], v[95:96], s[28:29]
	v_fma_f64 v[69:70], v[69:70], s[24:25], v[115:116]
	v_fma_f64 v[115:116], v[87:88], s[26:27], -v[111:112]
	v_add_f64 v[30:31], v[30:31], v[144:145]
	v_fma_f64 v[144:145], v[87:88], s[16:17], -v[91:92]
	v_fma_f64 v[91:92], v[87:88], s[16:17], v[91:92]
	v_fma_f64 v[87:88], v[87:88], s[26:27], v[111:112]
	v_add_f64 v[89:90], v[89:90], v[127:128]
	v_mul_f64 v[111:112], v[103:104], s[22:23]
	v_add_f64 v[121:122], v[121:122], v[34:35]
	v_add_f64 v[16:17], v[99:100], v[16:17]
	v_mul_f64 v[34:35], v[103:104], s[20:21]
	v_add_f64 v[38:39], v[38:39], v[46:47]
	v_mul_f64 v[46:47], v[81:82], s[8:9]
	v_mul_f64 v[123:124], v[79:80], s[26:27]
	v_mul_f64 v[148:149], v[103:104], s[26:27]
	v_add_f64 v[97:98], v[97:98], v[140:141]
	v_add_f64 v[18:19], v[26:27], v[18:19]
	v_add_f64 v[93:94], v[136:137], -v[93:94]
	v_mul_f64 v[113:114], v[103:104], s[16:17]
	v_mul_f64 v[130:131], v[81:82], s[34:35]
	v_add_f64 v[42:43], v[150:151], v[42:43]
	v_mul_f64 v[150:151], v[81:82], s[18:19]
	v_add_f64 v[24:25], v[109:110], v[24:25]
	v_mul_f64 v[103:104], v[103:104], s[6:7]
	v_fma_f64 v[140:141], v[71:72], s[28:29], v[107:108]
	v_mul_f64 v[81:82], v[81:82], s[30:31]
	v_fma_f64 v[26:27], v[77:78], s[20:21], -v[95:96]
	v_add_f64 v[20:21], v[115:116], v[28:29]
	v_fma_f64 v[127:128], v[71:72], s[30:31], v[119:120]
	v_fma_f64 v[119:120], v[71:72], s[4:5], v[119:120]
	v_fma_f64 v[109:110], v[77:78], s[6:7], -v[105:106]
	v_add_f64 v[16:17], v[101:102], v[16:17]
	v_add_f64 v[22:23], v[144:145], v[142:143]
	;; [unrolled: 1-line block ×3, first 2 shown]
	v_fma_f64 v[28:29], v[77:78], s[6:7], v[105:106]
	v_add_f64 v[40:41], v[91:92], v[40:41]
	v_fma_f64 v[71:72], v[71:72], s[8:9], v[107:108]
	v_add_f64 v[30:31], v[69:70], v[30:31]
	;; [unrolled: 2-line block ×3, first 2 shown]
	v_fma_f64 v[87:88], v[75:76], s[0:1], v[111:112]
	v_fma_f64 v[91:92], v[75:76], s[18:19], v[111:112]
	v_add_f64 v[107:108], v[14:15], v[10:11]
	v_add_f64 v[111:112], v[12:13], v[8:9]
	v_fma_f64 v[73:74], v[75:76], s[28:29], v[34:35]
	v_fma_f64 v[117:118], v[79:80], s[20:21], v[46:47]
	;; [unrolled: 1-line block ×3, first 2 shown]
	v_fma_f64 v[46:47], v[79:80], s[20:21], -v[46:47]
	v_add_f64 v[85:86], v[85:86], v[148:149]
	v_add_f64 v[97:98], v[97:98], v[18:19]
	v_add_f64 v[83:84], v[123:124], -v[83:84]
	v_fma_f64 v[101:102], v[75:76], s[30:31], v[103:104]
	v_add_f64 v[24:25], v[140:141], v[24:25]
	v_add_f64 v[16:17], v[93:94], v[16:17]
	v_fma_f64 v[105:106], v[79:80], s[6:7], -v[81:82]
	v_add_f64 v[20:21], v[26:27], v[20:21]
	v_add_f64 v[42:43], v[119:120], v[42:43]
	v_fma_f64 v[95:96], v[79:80], s[22:23], -v[150:151]
	v_add_f64 v[93:94], v[109:110], v[22:23]
	v_fma_f64 v[125:126], v[75:76], s[14:15], v[113:114]
	v_fma_f64 v[99:100], v[79:80], s[16:17], v[130:131]
	v_fma_f64 v[113:114], v[75:76], s[34:35], v[113:114]
	v_fma_f64 v[130:131], v[79:80], s[16:17], -v[130:131]
	v_add_f64 v[146:147], v[164:165], v[146:147]
	v_add_f64 v[89:90], v[127:128], v[134:135]
	v_fma_f64 v[109:110], v[79:80], s[22:23], v[150:151]
	v_add_f64 v[40:41], v[28:29], v[40:41]
	v_fma_f64 v[75:76], v[75:76], s[4:5], v[103:104]
	;; [unrolled: 2-line block ×3, first 2 shown]
	v_add_f64 v[69:70], v[69:70], v[77:78]
	v_add_f64 v[6:7], v[107:108], v[6:7]
	;; [unrolled: 1-line block ×19, first 2 shown]
	v_mad_u32_u24 v44, 0xa0, v52, v129
	v_add_f64 v[42:43], v[75:76], v[71:72]
	v_add_f64 v[40:41], v[79:80], v[69:70]
	ds_write_b128 v44, v[4:7]
	ds_write_b128 v44, v[32:35] offset:16
	ds_write_b128 v44, v[28:31] offset:32
	;; [unrolled: 1-line block ×10, first 2 shown]
.LBB0_21:
	s_or_b32 exec_lo, exec_lo, s33
	v_and_b32_e32 v64, 0xff, v52
	v_mov_b32_e32 v6, 0xba2f
	v_mov_b32_e32 v66, 4
	s_waitcnt lgkmcnt(0)
	s_barrier
	v_mul_lo_u16 v4, 0x75, v64
	v_mul_u32_u24_sdwa v71, v65, v6 dst_sel:DWORD dst_unused:UNUSED_PAD src0_sel:WORD_0 src1_sel:DWORD
	v_mul_u32_u24_sdwa v70, v67, v6 dst_sel:DWORD dst_unused:UNUSED_PAD src0_sel:WORD_0 src1_sel:DWORD
	v_mul_u32_u24_sdwa v69, v63, v6 dst_sel:DWORD dst_unused:UNUSED_PAD src0_sel:WORD_0 src1_sel:DWORD
	buffer_gl0_inv
	v_lshrrev_b16 v4, 8, v4
	v_lshrrev_b32_e32 v99, 19, v71
	v_lshrrev_b32_e32 v100, 19, v70
	;; [unrolled: 1-line block ×3, first 2 shown]
	v_cmp_gt_u32_e64 s0, 0x42, v52
	v_sub_nc_u16 v5, v52, v4
	v_mul_lo_u16 v7, v101, 11
	v_lshrrev_b16 v5, 1, v5
	v_sub_nc_u16 v9, v63, v7
	v_and_b32_e32 v5, 0x7f, v5
	v_lshlrev_b32_sdwa v105, v66, v9 dst_sel:DWORD dst_unused:UNUSED_PAD src0_sel:DWORD src1_sel:WORD_0
	v_add_nc_u16 v4, v5, v4
	v_lshrrev_b16 v98, 3, v4
	v_mul_u32_u24_sdwa v4, v68, v6 dst_sel:DWORD dst_unused:UNUSED_PAD src0_sel:WORD_0 src1_sel:DWORD
	v_mul_lo_u16 v6, v99, 11
	v_mul_lo_u16 v5, v98, 11
	v_lshrrev_b32_e32 v102, 19, v4
	v_mul_lo_u16 v4, v100, 11
	v_sub_nc_u16 v6, v65, v6
	v_sub_nc_u16 v5, v52, v5
	v_mul_lo_u16 v8, v102, 11
	v_sub_nc_u16 v4, v67, v4
	v_lshlrev_b32_sdwa v104, v66, v6 dst_sel:DWORD dst_unused:UNUSED_PAD src0_sel:DWORD src1_sel:WORD_0
	v_lshlrev_b32_sdwa v103, v66, v5 dst_sel:DWORD dst_unused:UNUSED_PAD src0_sel:DWORD src1_sel:BYTE_0
	v_sub_nc_u16 v12, v68, v8
	v_lshlrev_b32_sdwa v68, v66, v4 dst_sel:DWORD dst_unused:UNUSED_PAD src0_sel:DWORD src1_sel:WORD_0
	s_clause 0x1
	global_load_dwordx4 v[8:11], v104, s[12:13]
	global_load_dwordx4 v[4:7], v103, s[12:13]
	v_lshlrev_b32_sdwa v106, v66, v12 dst_sel:DWORD dst_unused:UNUSED_PAD src0_sel:DWORD src1_sel:WORD_0
	s_clause 0x2
	global_load_dwordx4 v[12:15], v68, s[12:13]
	global_load_dwordx4 v[16:19], v105, s[12:13]
	;; [unrolled: 1-line block ×3, first 2 shown]
	ds_read_b128 v[24:27], v129 offset:15840
	ds_read_b128 v[28:31], v129 offset:19008
	;; [unrolled: 1-line block ×6, first 2 shown]
	ds_read_b128 v[72:75], v129
	ds_read_b128 v[76:79], v129 offset:3168
	ds_read_b128 v[80:83], v129 offset:6336
	;; [unrolled: 1-line block ×3, first 2 shown]
	s_waitcnt vmcnt(0) lgkmcnt(0)
	s_barrier
	buffer_gl0_inv
	v_mul_f64 v[90:91], v[30:31], v[10:11]
	v_mul_f64 v[10:11], v[28:29], v[10:11]
	v_mul_f64 v[88:89], v[26:27], v[6:7]
	v_mul_f64 v[6:7], v[24:25], v[6:7]
	v_mul_f64 v[92:93], v[34:35], v[14:15]
	v_mul_f64 v[14:15], v[32:33], v[14:15]
	v_mul_f64 v[94:95], v[38:39], v[18:19]
	v_mul_f64 v[18:19], v[36:37], v[18:19]
	v_mul_f64 v[96:97], v[42:43], v[22:23]
	v_mul_f64 v[22:23], v[40:41], v[22:23]
	v_fma_f64 v[24:25], v[24:25], v[4:5], -v[88:89]
	v_fma_f64 v[4:5], v[26:27], v[4:5], v[6:7]
	v_fma_f64 v[6:7], v[28:29], v[8:9], -v[90:91]
	v_fma_f64 v[26:27], v[30:31], v[8:9], v[10:11]
	v_fma_f64 v[28:29], v[32:33], v[12:13], -v[92:93]
	v_fma_f64 v[30:31], v[34:35], v[12:13], v[14:15]
	v_fma_f64 v[32:33], v[36:37], v[16:17], -v[94:95]
	v_fma_f64 v[34:35], v[38:39], v[16:17], v[18:19]
	v_fma_f64 v[36:37], v[40:41], v[20:21], -v[96:97]
	v_fma_f64 v[38:39], v[42:43], v[20:21], v[22:23]
	v_mov_b32_e32 v88, 0x160
	v_add_f64 v[8:9], v[72:73], -v[24:25]
	v_add_f64 v[10:11], v[74:75], -v[4:5]
	v_add_f64 v[12:13], v[76:77], -v[6:7]
	v_add_f64 v[14:15], v[78:79], -v[26:27]
	v_add_f64 v[16:17], v[80:81], -v[28:29]
	v_add_f64 v[18:19], v[82:83], -v[30:31]
	v_add_f64 v[20:21], v[84:85], -v[32:33]
	v_add_f64 v[22:23], v[86:87], -v[34:35]
	v_add_f64 v[4:5], v[44:45], -v[36:37]
	v_add_f64 v[6:7], v[46:47], -v[38:39]
	v_fma_f64 v[24:25], v[72:73], 2.0, -v[8:9]
	v_fma_f64 v[26:27], v[74:75], 2.0, -v[10:11]
	;; [unrolled: 1-line block ×10, first 2 shown]
	v_mul_u32_u24_sdwa v47, v98, v88 dst_sel:DWORD dst_unused:UNUSED_PAD src0_sel:WORD_0 src1_sel:DWORD
	v_mul_u32_u24_e32 v44, 0x160, v99
	v_mul_u32_u24_e32 v45, 0x160, v100
	;; [unrolled: 1-line block ×4, first 2 shown]
	v_add3_u32 v47, 0, v47, v103
	v_add3_u32 v44, 0, v44, v104
	v_add3_u32 v45, 0, v45, v68
	v_add3_u32 v46, 0, v46, v105
	v_add3_u32 v68, 0, v72, v106
	ds_write_b128 v47, v[8:11] offset:176
	ds_write_b128 v47, v[24:27]
	ds_write_b128 v44, v[28:31]
	ds_write_b128 v44, v[12:15] offset:176
	ds_write_b128 v45, v[32:35]
	ds_write_b128 v45, v[16:19] offset:176
	;; [unrolled: 2-line block ×4, first 2 shown]
	s_waitcnt lgkmcnt(0)
	s_barrier
	buffer_gl0_inv
	ds_read_b128 v[8:11], v129
	ds_read_b128 v[16:19], v129 offset:3168
	ds_read_b128 v[20:23], v129 offset:21120
	;; [unrolled: 1-line block ×8, first 2 shown]
                                        ; implicit-def: $vgpr46_vgpr47
	s_and_saveexec_b32 s1, s0
	s_cbranch_execz .LBB0_23
; %bb.22:
	ds_read_b128 v[4:7], v129 offset:9504
	ds_read_b128 v[0:3], v129 offset:20064
	ds_read_b128 v[44:47], v129 offset:30624
.LBB0_23:
	s_or_b32 exec_lo, exec_lo, s1
	v_lshrrev_b16 v68, 1, v52
	v_lshrrev_b32_e32 v118, 20, v71
	v_lshrrev_b32_e32 v119, 20, v70
	v_mov_b32_e32 v94, 5
	s_mov_b32 s4, 0xe8584caa
	v_and_b32_e32 v68, 0x7f, v68
	v_mul_lo_u16 v70, v118, 22
	v_mul_lo_u16 v71, v119, 22
	s_mov_b32 s5, 0x3febb67a
	s_mov_b32 s7, 0xbfebb67a
	v_mul_lo_u16 v68, 0xbb, v68
	v_sub_nc_u16 v121, v65, v70
	v_sub_nc_u16 v122, v67, v71
	s_mov_b32 s6, s4
	v_lshrrev_b16 v120, 11, v68
	v_lshrrev_b32_e32 v68, 20, v69
	v_lshlrev_b32_sdwa v69, v94, v121 dst_sel:DWORD dst_unused:UNUSED_PAD src0_sel:DWORD src1_sel:WORD_0
	v_lshlrev_b32_sdwa v82, v94, v122 dst_sel:DWORD dst_unused:UNUSED_PAD src0_sel:DWORD src1_sel:WORD_0
	v_mul_lo_u16 v70, v120, 22
	v_mul_lo_u16 v78, v68, 22
	global_load_dwordx4 v[74:77], v69, s[12:13] offset:192
	v_sub_nc_u16 v123, v52, v70
	global_load_dwordx4 v[70:73], v69, s[12:13] offset:176
	v_sub_nc_u16 v69, v63, v78
	v_lshlrev_b32_sdwa v90, v94, v123 dst_sel:DWORD dst_unused:UNUSED_PAD src0_sel:DWORD src1_sel:BYTE_0
	s_clause 0x3
	global_load_dwordx4 v[78:81], v82, s[12:13] offset:176
	global_load_dwordx4 v[82:85], v82, s[12:13] offset:192
	;; [unrolled: 1-line block ×4, first 2 shown]
	v_lshlrev_b32_sdwa v98, v94, v69 dst_sel:DWORD dst_unused:UNUSED_PAD src0_sel:DWORD src1_sel:WORD_0
	s_clause 0x1
	global_load_dwordx4 v[94:97], v98, s[12:13] offset:176
	global_load_dwordx4 v[98:101], v98, s[12:13] offset:192
	s_waitcnt vmcnt(0) lgkmcnt(0)
	s_barrier
	buffer_gl0_inv
	v_mul_f64 v[104:105], v[38:39], v[76:77]
	v_mul_f64 v[76:77], v[36:37], v[76:77]
	;; [unrolled: 1-line block ×16, first 2 shown]
	v_fma_f64 v[36:37], v[36:37], v[74:75], -v[104:105]
	v_fma_f64 v[38:39], v[38:39], v[74:75], v[76:77]
	v_fma_f64 v[40:41], v[40:41], v[70:71], -v[102:103]
	v_fma_f64 v[42:43], v[42:43], v[70:71], v[72:73]
	v_fma_f64 v[28:29], v[28:29], v[78:79], -v[106:107]
	v_fma_f64 v[32:33], v[32:33], v[82:83], -v[108:109]
	;; [unrolled: 1-line block ×4, first 2 shown]
	v_fma_f64 v[26:27], v[26:27], v[86:87], v[88:89]
	v_fma_f64 v[22:23], v[22:23], v[90:91], v[92:93]
	;; [unrolled: 1-line block ×4, first 2 shown]
	v_fma_f64 v[0:1], v[0:1], v[94:95], -v[114:115]
	v_fma_f64 v[44:45], v[44:45], v[98:99], -v[116:117]
	v_fma_f64 v[2:3], v[2:3], v[94:95], v[96:97]
	v_fma_f64 v[46:47], v[46:47], v[98:99], v[100:101]
	v_mov_b32_e32 v108, 0x420
	v_mul_u32_u24_e32 v109, 0x420, v118
	v_mul_u32_u24_e32 v110, 0x420, v119
	v_add_f64 v[80:81], v[16:17], v[40:41]
	v_add_f64 v[72:73], v[42:43], v[38:39]
	;; [unrolled: 1-line block ×3, first 2 shown]
	v_add_f64 v[84:85], v[42:43], -v[38:39]
	v_add_f64 v[42:43], v[18:19], v[42:43]
	v_add_f64 v[74:75], v[28:29], v[32:33]
	v_add_f64 v[40:41], v[40:41], -v[36:37]
	v_add_f64 v[76:77], v[24:25], v[20:21]
	v_add_f64 v[90:91], v[12:13], v[28:29]
	;; [unrolled: 1-line block ×11, first 2 shown]
	v_add_f64 v[102:103], v[30:31], -v[34:35]
	v_add_f64 v[104:105], v[2:3], -v[46:47]
	;; [unrolled: 1-line block ×3, first 2 shown]
	v_fma_f64 v[30:31], v[72:73], -0.5, v[18:19]
	v_add_f64 v[72:73], v[26:27], -v[22:23]
	v_fma_f64 v[70:71], v[70:71], -0.5, v[16:17]
	v_fma_f64 v[74:75], v[74:75], -0.5, v[12:13]
	v_add_f64 v[12:13], v[80:81], v[36:37]
	v_fma_f64 v[8:9], v[76:77], -0.5, v[8:9]
	v_add_f64 v[76:77], v[24:25], -v[20:21]
	v_fma_f64 v[10:11], v[78:79], -0.5, v[10:11]
	v_add_f64 v[78:79], v[28:29], -v[32:33]
	v_fma_f64 v[82:83], v[82:83], -0.5, v[14:15]
	v_add_f64 v[14:15], v[42:43], v[38:39]
	v_fma_f64 v[86:87], v[86:87], -0.5, v[4:5]
	v_add_f64 v[0:1], v[94:95], v[44:45]
	;; [unrolled: 2-line block ×3, first 2 shown]
	v_add_f64 v[20:21], v[98:99], v[20:21]
	v_add_f64 v[22:23], v[100:101], v[22:23]
	;; [unrolled: 1-line block ×4, first 2 shown]
	v_fma_f64 v[26:27], v[40:41], s[6:7], v[30:31]
	v_fma_f64 v[30:31], v[40:41], s[4:5], v[30:31]
	;; [unrolled: 1-line block ×16, first 2 shown]
	v_mul_u32_u24_sdwa v71, v120, v108 dst_sel:DWORD dst_unused:UNUSED_PAD src0_sel:WORD_0 src1_sel:DWORD
	v_lshlrev_b32_sdwa v72, v66, v123 dst_sel:DWORD dst_unused:UNUSED_PAD src0_sel:DWORD src1_sel:BYTE_0
	v_lshlrev_b32_sdwa v70, v66, v121 dst_sel:DWORD dst_unused:UNUSED_PAD src0_sel:DWORD src1_sel:WORD_0
	v_lshlrev_b32_sdwa v66, v66, v122 dst_sel:DWORD dst_unused:UNUSED_PAD src0_sel:DWORD src1_sel:WORD_0
	v_add3_u32 v71, 0, v71, v72
	v_add3_u32 v70, 0, v109, v70
	;; [unrolled: 1-line block ×3, first 2 shown]
	ds_write_b128 v71, v[20:23]
	ds_write_b128 v71, v[36:39] offset:352
	ds_write_b128 v71, v[40:43] offset:704
	ds_write_b128 v70, v[12:15]
	ds_write_b128 v70, v[24:27] offset:352
	ds_write_b128 v70, v[28:31] offset:704
	;; [unrolled: 3-line block ×3, first 2 shown]
	s_and_saveexec_b32 s1, s0
	s_cbranch_execz .LBB0_25
; %bb.24:
	v_mov_b32_e32 v12, 4
	v_mul_lo_u16 v13, 0x42, v68
	v_lshlrev_b32_sdwa v14, v12, v69 dst_sel:DWORD dst_unused:UNUSED_PAD src0_sel:DWORD src1_sel:WORD_0
	v_lshlrev_b32_sdwa v12, v12, v13 dst_sel:DWORD dst_unused:UNUSED_PAD src0_sel:DWORD src1_sel:WORD_0
	v_add3_u32 v12, 0, v14, v12
	ds_write_b128 v12, v[0:3]
	ds_write_b128 v12, v[4:7] offset:352
	ds_write_b128 v12, v[8:11] offset:704
.LBB0_25:
	s_or_b32 exec_lo, exec_lo, s1
	s_waitcnt lgkmcnt(0)
	s_barrier
	buffer_gl0_inv
	ds_read_b128 v[16:19], v129
	ds_read_b128 v[12:15], v129 offset:3168
	ds_read_b128 v[32:35], v129 offset:21120
	;; [unrolled: 1-line block ×8, first 2 shown]
	s_and_saveexec_b32 s1, s0
	s_cbranch_execz .LBB0_27
; %bb.26:
	ds_read_b128 v[0:3], v129 offset:9504
	ds_read_b128 v[4:7], v129 offset:20064
	;; [unrolled: 1-line block ×3, first 2 shown]
.LBB0_27:
	s_or_b32 exec_lo, exec_lo, s1
	v_mov_b32_e32 v66, 0xf83f
	v_mul_lo_u16 v64, 0xf9, v64
	v_mov_b32_e32 v75, 5
	s_mov_b32 s6, s4
	v_mul_u32_u24_sdwa v68, v65, v66 dst_sel:DWORD dst_unused:UNUSED_PAD src0_sel:WORD_0 src1_sel:DWORD
	v_lshrrev_b16 v101, 14, v64
	v_mul_u32_u24_sdwa v64, v67, v66 dst_sel:DWORD dst_unused:UNUSED_PAD src0_sel:WORD_0 src1_sel:DWORD
	v_lshrrev_b32_e32 v102, 22, v68
	v_mul_lo_u16 v68, 0x42, v101
	v_lshrrev_b32_e32 v103, 22, v64
	v_mul_lo_u16 v64, 0x42, v102
	v_sub_nc_u16 v104, v52, v68
	v_mul_lo_u16 v68, 0x42, v103
	v_sub_nc_u16 v105, v65, v64
	v_lshlrev_b32_sdwa v64, v75, v104 dst_sel:DWORD dst_unused:UNUSED_PAD src0_sel:DWORD src1_sel:BYTE_0
	v_sub_nc_u16 v106, v67, v68
	s_clause 0x1
	global_load_dwordx4 v[67:70], v64, s[12:13] offset:880
	global_load_dwordx4 v[71:74], v64, s[12:13] offset:896
	v_lshlrev_b32_sdwa v65, v75, v105 dst_sel:DWORD dst_unused:UNUSED_PAD src0_sel:DWORD src1_sel:WORD_0
	v_lshlrev_b32_sdwa v64, v75, v106 dst_sel:DWORD dst_unused:UNUSED_PAD src0_sel:DWORD src1_sel:WORD_0
	s_clause 0x3
	global_load_dwordx4 v[75:78], v65, s[12:13] offset:880
	global_load_dwordx4 v[79:82], v65, s[12:13] offset:896
	;; [unrolled: 1-line block ×4, first 2 shown]
	s_waitcnt vmcnt(0) lgkmcnt(0)
	s_barrier
	buffer_gl0_inv
	v_mul_f64 v[64:65], v[46:47], v[69:70]
	v_mul_f64 v[69:70], v[44:45], v[69:70]
	;; [unrolled: 1-line block ×12, first 2 shown]
	v_fma_f64 v[44:45], v[44:45], v[67:68], -v[64:65]
	v_fma_f64 v[46:47], v[46:47], v[67:68], v[69:70]
	v_fma_f64 v[32:33], v[32:33], v[71:72], -v[91:92]
	v_fma_f64 v[34:35], v[34:35], v[71:72], v[73:74]
	;; [unrolled: 2-line block ×6, first 2 shown]
	v_mov_b32_e32 v91, 0xc60
	v_mov_b32_e32 v92, 4
	v_mul_u32_u24_sdwa v91, v101, v91 dst_sel:DWORD dst_unused:UNUSED_PAD src0_sel:WORD_0 src1_sel:DWORD
	v_add_f64 v[77:78], v[16:17], v[44:45]
	v_add_f64 v[64:65], v[44:45], v[32:33]
	;; [unrolled: 1-line block ×3, first 2 shown]
	v_add_f64 v[79:80], v[46:47], -v[34:35]
	v_add_f64 v[46:47], v[18:19], v[46:47]
	v_add_f64 v[69:70], v[40:41], v[24:25]
	;; [unrolled: 1-line block ×3, first 2 shown]
	v_add_f64 v[44:45], v[44:45], -v[32:33]
	v_add_f64 v[81:82], v[12:13], v[40:41]
	v_add_f64 v[73:74], v[36:37], v[28:29]
	;; [unrolled: 1-line block ×6, first 2 shown]
	v_add_f64 v[42:43], v[42:43], -v[26:27]
	v_add_f64 v[40:41], v[40:41], -v[24:25]
	;; [unrolled: 1-line block ×3, first 2 shown]
	v_fma_f64 v[64:65], v[64:65], -0.5, v[16:17]
	v_fma_f64 v[67:68], v[67:68], -0.5, v[18:19]
	v_fma_f64 v[69:70], v[69:70], -0.5, v[12:13]
	v_fma_f64 v[38:39], v[71:72], -0.5, v[14:15]
	v_add_f64 v[71:72], v[36:37], -v[28:29]
	v_add_f64 v[12:13], v[77:78], v[32:33]
	v_fma_f64 v[73:74], v[73:74], -0.5, v[20:21]
	v_fma_f64 v[75:76], v[75:76], -0.5, v[22:23]
	v_add_f64 v[14:15], v[46:47], v[34:35]
	v_add_f64 v[16:17], v[81:82], v[24:25]
	;; [unrolled: 1-line block ×5, first 2 shown]
	v_fma_f64 v[24:25], v[79:80], s[4:5], v[64:65]
	v_fma_f64 v[26:27], v[44:45], s[6:7], v[67:68]
	;; [unrolled: 1-line block ×12, first 2 shown]
	v_lshlrev_b32_sdwa v64, v92, v104 dst_sel:DWORD dst_unused:UNUSED_PAD src0_sel:DWORD src1_sel:BYTE_0
	v_mul_u32_u24_e32 v65, 0xc60, v102
	v_lshlrev_b32_sdwa v68, v92, v105 dst_sel:DWORD dst_unused:UNUSED_PAD src0_sel:DWORD src1_sel:WORD_0
	v_mul_u32_u24_e32 v67, 0xc60, v103
	v_lshlrev_b32_sdwa v69, v92, v106 dst_sel:DWORD dst_unused:UNUSED_PAD src0_sel:DWORD src1_sel:WORD_0
	v_add3_u32 v64, 0, v91, v64
	v_add3_u32 v65, 0, v65, v68
	;; [unrolled: 1-line block ×3, first 2 shown]
	ds_write_b128 v64, v[12:15]
	ds_write_b128 v64, v[24:27] offset:1056
	ds_write_b128 v64, v[28:31] offset:2112
	ds_write_b128 v65, v[16:19]
	ds_write_b128 v65, v[32:35] offset:1056
	ds_write_b128 v65, v[36:39] offset:2112
	;; [unrolled: 3-line block ×3, first 2 shown]
	s_and_saveexec_b32 s1, s0
	s_cbranch_execz .LBB0_29
; %bb.28:
	v_mul_u32_u24_sdwa v12, v63, v66 dst_sel:DWORD dst_unused:UNUSED_PAD src0_sel:WORD_0 src1_sel:DWORD
	v_lshrrev_b32_e32 v12, 22, v12
	v_mul_lo_u16 v12, 0x42, v12
	v_sub_nc_u16 v12, v63, v12
	v_and_b32_e32 v24, 0xffff, v12
	v_lshlrev_b32_e32 v16, 5, v24
	s_clause 0x1
	global_load_dwordx4 v[12:15], v16, s[12:13] offset:880
	global_load_dwordx4 v[16:19], v16, s[12:13] offset:896
	s_waitcnt vmcnt(1)
	v_mul_f64 v[20:21], v[4:5], v[14:15]
	s_waitcnt vmcnt(0)
	v_mul_f64 v[22:23], v[8:9], v[18:19]
	v_mul_f64 v[14:15], v[6:7], v[14:15]
	;; [unrolled: 1-line block ×3, first 2 shown]
	v_fma_f64 v[6:7], v[6:7], v[12:13], v[20:21]
	v_fma_f64 v[10:11], v[10:11], v[16:17], v[22:23]
	v_fma_f64 v[4:5], v[4:5], v[12:13], -v[14:15]
	v_fma_f64 v[8:9], v[8:9], v[16:17], -v[18:19]
	v_add_f64 v[18:19], v[2:3], v[6:7]
	v_add_f64 v[12:13], v[6:7], v[10:11]
	v_add_f64 v[20:21], v[6:7], -v[10:11]
	v_add_f64 v[14:15], v[4:5], v[8:9]
	v_add_f64 v[16:17], v[4:5], -v[8:9]
	v_add_f64 v[4:5], v[0:1], v[4:5]
	v_fma_f64 v[12:13], v[12:13], -0.5, v[2:3]
	v_add_f64 v[2:3], v[18:19], v[10:11]
	v_fma_f64 v[14:15], v[14:15], -0.5, v[0:1]
	v_add_f64 v[0:1], v[4:5], v[8:9]
	v_fma_f64 v[10:11], v[16:17], s[6:7], v[12:13]
	v_fma_f64 v[6:7], v[16:17], s[4:5], v[12:13]
	;; [unrolled: 1-line block ×4, first 2 shown]
	v_lshl_add_u32 v12, v24, 4, 0
	ds_write_b128 v12, v[0:3] offset:28512
	ds_write_b128 v12, v[8:11] offset:29568
	;; [unrolled: 1-line block ×3, first 2 shown]
.LBB0_29:
	s_or_b32 exec_lo, exec_lo, s1
	v_lshlrev_b32_e32 v7, 2, v52
	v_mov_b32_e32 v8, 0
	s_waitcnt lgkmcnt(0)
	s_barrier
	buffer_gl0_inv
	s_mov_b32 s8, 0x134454ff
	v_lshlrev_b64 v[0:1], 4, v[7:8]
	s_mov_b32 s9, 0x3fee6f0e
	s_mov_b32 s15, 0xbfee6f0e
	;; [unrolled: 1-line block ×5, first 2 shown]
	v_add_co_u32 v2, s0, s12, v0
	v_add_co_ci_u32_e64 v3, s0, s13, v1, s0
	s_mov_b32 s1, 0xbfe2cf23
	v_add_co_u32 v0, s0, 0x800, v2
	v_add_co_ci_u32_e64 v1, s0, 0, v3, s0
	v_add_co_u32 v2, s0, 0xbb0, v2
	v_add_co_ci_u32_e64 v3, s0, 0, v3, s0
	s_clause 0x3
	global_load_dwordx4 v[9:12], v[0:1], off offset:944
	global_load_dwordx4 v[13:16], v[2:3], off offset:16
	;; [unrolled: 1-line block ×4, first 2 shown]
	ds_read_b128 v[4:7], v129
	ds_read_b128 v[0:3], v129 offset:3168
	ds_read_b128 v[25:28], v129 offset:6336
	;; [unrolled: 1-line block ×9, first 2 shown]
	v_add_co_u32 v47, s0, s12, v53
	v_add_co_ci_u32_e64 v107, s0, s13, v54, s0
	v_add_co_u32 v108, s0, s12, v55
	v_add_co_ci_u32_e64 v109, s0, s13, v56, s0
	v_add_co_u32 v110, s0, s12, v57
	v_add_co_ci_u32_e64 v111, s0, s13, v58, s0
	v_add_co_u32 v112, s0, s12, v59
	v_add_co_ci_u32_e64 v113, s0, s13, v60, s0
	v_add_co_u32 v114, s0, s12, v61
	v_add_co_ci_u32_e64 v115, s0, s13, v62, s0
	s_mov_b32 s0, s6
	s_mov_b32 s4, 0x372fe950
	;; [unrolled: 1-line block ×3, first 2 shown]
	s_waitcnt vmcnt(0) lgkmcnt(0)
	s_barrier
	buffer_gl0_inv
	v_mul_f64 v[45:46], v[27:28], v[11:12]
	v_mul_f64 v[53:54], v[25:26], v[11:12]
	;; [unrolled: 1-line block ×16, first 2 shown]
	v_fma_f64 v[25:26], v[25:26], v[9:10], -v[45:46]
	v_fma_f64 v[27:28], v[27:28], v[9:10], v[53:54]
	v_fma_f64 v[33:34], v[33:34], v[13:14], -v[75:76]
	v_fma_f64 v[35:36], v[35:36], v[13:14], v[77:78]
	;; [unrolled: 2-line block ×8, first 2 shown]
	v_add_f64 v[23:24], v[4:5], v[25:26]
	v_add_f64 v[65:66], v[6:7], v[27:28]
	v_add_f64 v[55:56], v[25:26], -v[33:34]
	v_add_f64 v[61:62], v[33:34], -v[25:26]
	v_add_f64 v[31:32], v[33:34], v[41:42]
	v_add_f64 v[67:68], v[35:36], v[43:44]
	;; [unrolled: 1-line block ×4, first 2 shown]
	v_add_f64 v[57:58], v[53:54], -v[41:42]
	v_add_f64 v[81:82], v[0:1], v[29:30]
	v_add_f64 v[101:102], v[2:3], v[9:10]
	v_add_f64 v[37:38], v[27:28], -v[45:46]
	v_add_f64 v[79:80], v[11:12], v[15:16]
	v_add_f64 v[87:88], v[13:14], v[17:18]
	;; [unrolled: 1-line block ×4, first 2 shown]
	v_add_f64 v[39:40], v[35:36], -v[43:44]
	v_add_f64 v[63:64], v[41:42], -v[53:54]
	;; [unrolled: 1-line block ×10, first 2 shown]
	v_fma_f64 v[31:32], v[31:32], -0.5, v[4:5]
	v_fma_f64 v[67:68], v[67:68], -0.5, v[6:7]
	;; [unrolled: 1-line block ×4, first 2 shown]
	v_add_f64 v[97:98], v[11:12], -v[29:30]
	v_add_f64 v[29:30], v[29:30], -v[19:20]
	v_add_f64 v[23:24], v[23:24], v[33:34]
	v_add_f64 v[33:34], v[55:56], v[57:58]
	v_fma_f64 v[79:80], v[79:80], -0.5, v[0:1]
	v_fma_f64 v[55:56], v[87:88], -0.5, v[2:3]
	v_add_f64 v[89:90], v[13:14], -v[17:18]
	v_add_f64 v[95:96], v[19:20], -v[15:16]
	;; [unrolled: 1-line block ×3, first 2 shown]
	v_fma_f64 v[0:1], v[83:84], -0.5, v[0:1]
	v_fma_f64 v[2:3], v[91:92], -0.5, v[2:3]
	v_add_f64 v[105:106], v[9:10], -v[13:14]
	v_add_f64 v[9:10], v[13:14], -v[9:10]
	;; [unrolled: 1-line block ×3, first 2 shown]
	v_add_f64 v[35:36], v[65:66], v[35:36]
	v_add_f64 v[11:12], v[81:82], v[11:12]
	;; [unrolled: 1-line block ×6, first 2 shown]
	v_fma_f64 v[71:72], v[37:38], s[8:9], v[31:32]
	v_fma_f64 v[31:32], v[37:38], s[14:15], v[31:32]
	;; [unrolled: 1-line block ×8, first 2 shown]
	v_add_f64 v[59:60], v[21:22], -v[17:18]
	v_fma_f64 v[83:84], v[85:86], s[8:9], v[79:80]
	v_fma_f64 v[91:92], v[29:30], s[14:15], v[55:56]
	v_add_f64 v[99:100], v[15:16], -v[19:20]
	v_add_f64 v[63:64], v[93:94], v[95:96]
	v_fma_f64 v[87:88], v[89:90], s[14:15], v[0:1]
	v_fma_f64 v[93:94], v[103:104], s[8:9], v[2:3]
	;; [unrolled: 1-line block ×6, first 2 shown]
	v_add_f64 v[75:76], v[9:10], v[75:76]
	v_add_f64 v[9:10], v[23:24], v[41:42]
	;; [unrolled: 1-line block ×5, first 2 shown]
	v_fma_f64 v[15:16], v[39:40], s[6:7], v[71:72]
	v_fma_f64 v[17:18], v[39:40], s[0:1], v[31:32]
	;; [unrolled: 1-line block ×8, first 2 shown]
	v_add_f64 v[59:60], v[105:106], v[59:60]
	v_fma_f64 v[43:44], v[89:90], s[6:7], v[83:84]
	v_fma_f64 v[73:74], v[103:104], s[0:1], v[91:92]
	v_add_f64 v[65:66], v[97:98], v[99:100]
	v_fma_f64 v[69:70], v[85:86], s[6:7], v[87:88]
	v_fma_f64 v[77:78], v[29:30], s[0:1], v[93:94]
	;; [unrolled: 1-line block ×6, first 2 shown]
	v_add_f64 v[0:1], v[9:10], v[53:54]
	v_add_f64 v[2:3], v[23:24], v[45:46]
	;; [unrolled: 1-line block ×4, first 2 shown]
	v_fma_f64 v[9:10], v[33:34], s[4:5], v[15:16]
	v_fma_f64 v[13:14], v[33:34], s[4:5], v[17:18]
	v_fma_f64 v[17:18], v[57:58], s[4:5], v[31:32]
	v_fma_f64 v[21:22], v[57:58], s[4:5], v[35:36]
	v_fma_f64 v[11:12], v[61:62], s[4:5], v[37:38]
	v_fma_f64 v[19:20], v[27:28], s[4:5], v[41:42]
	v_fma_f64 v[23:24], v[27:28], s[4:5], v[25:26]
	v_fma_f64 v[15:16], v[61:62], s[4:5], v[39:40]
	v_add_co_u32 v81, s0, 0x3800, v47
	v_fma_f64 v[25:26], v[63:64], s[4:5], v[43:44]
	v_fma_f64 v[27:28], v[59:60], s[4:5], v[73:74]
	;; [unrolled: 1-line block ×8, first 2 shown]
	v_add_co_ci_u32_e64 v82, s0, 0, v107, s0
	v_add_co_u32 v41, s0, 0x3800, v108
	v_add_co_ci_u32_e64 v42, s0, 0, v109, s0
	v_add_co_u32 v43, s0, 0x3800, v110
	;; [unrolled: 2-line block ×3, first 2 shown]
	v_add_co_ci_u32_e64 v46, s0, 0, v113, s0
	ds_write_b128 v129, v[0:3]
	ds_write_b128 v129, v[4:7] offset:15840
	ds_write_b128 v129, v[9:12] offset:3168
	;; [unrolled: 1-line block ×9, first 2 shown]
	v_add_co_u32 v17, s0, 0x3800, v114
	s_waitcnt lgkmcnt(0)
	s_barrier
	buffer_gl0_inv
	s_clause 0x1
	global_load_dwordx4 v[0:3], v[81:82], off offset:1328
	global_load_dwordx4 v[4:7], v[41:42], off offset:1328
	v_add_co_ci_u32_e64 v18, s0, 0, v115, s0
	s_clause 0x2
	global_load_dwordx4 v[9:12], v[43:44], off offset:1328
	global_load_dwordx4 v[13:16], v[45:46], off offset:1328
	;; [unrolled: 1-line block ×3, first 2 shown]
	ds_read_b128 v[21:24], v129 offset:15840
	ds_read_b128 v[25:28], v129 offset:19008
	;; [unrolled: 1-line block ×6, first 2 shown]
	ds_read_b128 v[53:56], v129
	ds_read_b128 v[57:60], v129 offset:3168
	ds_read_b128 v[61:64], v129 offset:6336
	;; [unrolled: 1-line block ×3, first 2 shown]
	s_waitcnt vmcnt(0) lgkmcnt(0)
	s_barrier
	buffer_gl0_inv
	v_mul_f64 v[45:46], v[23:24], v[2:3]
	v_mul_f64 v[2:3], v[21:22], v[2:3]
	;; [unrolled: 1-line block ×10, first 2 shown]
	v_fma_f64 v[21:22], v[21:22], v[0:1], -v[45:46]
	v_fma_f64 v[2:3], v[23:24], v[0:1], v[2:3]
	v_fma_f64 v[23:24], v[25:26], v[4:5], -v[69:70]
	v_fma_f64 v[6:7], v[27:28], v[4:5], v[6:7]
	;; [unrolled: 2-line block ×5, first 2 shown]
	v_add_f64 v[0:1], v[53:54], -v[21:22]
	v_add_f64 v[2:3], v[55:56], -v[2:3]
	;; [unrolled: 1-line block ×10, first 2 shown]
	v_fma_f64 v[21:22], v[53:54], 2.0, -v[0:1]
	v_fma_f64 v[23:24], v[55:56], 2.0, -v[2:3]
	;; [unrolled: 1-line block ×10, first 2 shown]
	ds_write_b128 v129, v[0:3] offset:15840
	ds_write_b128 v129, v[4:7] offset:19008
	;; [unrolled: 1-line block ×5, first 2 shown]
	ds_write_b128 v129, v[21:24]
	ds_write_b128 v129, v[25:28] offset:3168
	ds_write_b128 v129, v[29:32] offset:6336
	ds_write_b128 v129, v[33:36] offset:9504
	ds_write_b128 v129, v[37:40] offset:12672
	s_waitcnt lgkmcnt(0)
	s_barrier
	buffer_gl0_inv
	s_and_saveexec_b32 s0, vcc_lo
	s_cbranch_execz .LBB0_31
; %bb.30:
	v_mul_lo_u32 v2, s3, v50
	v_mul_lo_u32 v3, s2, v51
	v_mad_u64_u32 v[0:1], null, s2, v50, 0
	v_lshl_add_u32 v6, v52, 4, 0
	v_mov_b32_e32 v53, v8
	v_lshlrev_b64 v[4:5], 4, v[48:49]
	v_add_nc_u32_e32 v7, 0xc6, v52
	v_add3_u32 v1, v1, v3, v2
	v_lshlrev_b64 v[15:16], 4, v[52:53]
	v_lshlrev_b64 v[13:14], 4, v[0:1]
	ds_read_b128 v[0:3], v6
	ds_read_b128 v[9:12], v6 offset:3168
	v_add_co_u32 v17, vcc_lo, s10, v13
	v_add_co_ci_u32_e32 v18, vcc_lo, s11, v14, vcc_lo
	v_lshlrev_b64 v[13:14], 4, v[7:8]
	v_add_co_u32 v31, vcc_lo, v17, v4
	v_add_co_ci_u32_e32 v32, vcc_lo, v18, v5, vcc_lo
	v_add_nc_u32_e32 v7, 0x18c, v52
	v_add_co_u32 v4, vcc_lo, v31, v15
	v_add_co_ci_u32_e32 v5, vcc_lo, v32, v16, vcc_lo
	v_add_co_u32 v13, vcc_lo, v31, v13
	v_add_co_ci_u32_e32 v14, vcc_lo, v32, v14, vcc_lo
	s_waitcnt lgkmcnt(1)
	global_store_dwordx4 v[4:5], v[0:3], off
	s_waitcnt lgkmcnt(0)
	global_store_dwordx4 v[13:14], v[9:12], off
	v_lshlrev_b64 v[17:18], 4, v[7:8]
	v_add_nc_u32_e32 v7, 0x252, v52
	ds_read_b128 v[0:3], v6 offset:6336
	ds_read_b128 v[9:12], v6 offset:9504
	;; [unrolled: 1-line block ×3, first 2 shown]
	v_lshlrev_b64 v[4:5], 4, v[7:8]
	v_add_nc_u32_e32 v7, 0x318, v52
	v_add_co_u32 v17, vcc_lo, v31, v17
	v_add_co_ci_u32_e32 v18, vcc_lo, v32, v18, vcc_lo
	v_lshlrev_b64 v[19:20], 4, v[7:8]
	v_add_nc_u32_e32 v7, 0x3de, v52
	v_add_co_u32 v4, vcc_lo, v31, v4
	v_add_co_ci_u32_e32 v5, vcc_lo, v32, v5, vcc_lo
	;; [unrolled: 4-line block ×3, first 2 shown]
	s_waitcnt lgkmcnt(2)
	global_store_dwordx4 v[17:18], v[0:3], off
	s_waitcnt lgkmcnt(1)
	global_store_dwordx4 v[4:5], v[9:12], off
	v_lshlrev_b64 v[4:5], 4, v[7:8]
	v_add_nc_u32_e32 v7, 0x56a, v52
	v_add_co_u32 v25, vcc_lo, v31, v21
	s_waitcnt lgkmcnt(0)
	global_store_dwordx4 v[19:20], v[13:16], off
	ds_read_b128 v[0:3], v6 offset:15840
	v_add_co_ci_u32_e32 v26, vcc_lo, v32, v22, vcc_lo
	ds_read_b128 v[9:12], v6 offset:19008
	ds_read_b128 v[13:16], v6 offset:22176
	;; [unrolled: 1-line block ×4, first 2 shown]
	v_lshlrev_b64 v[27:28], 4, v[7:8]
	v_add_nc_u32_e32 v7, 0x630, v52
	v_add_co_u32 v4, vcc_lo, v31, v4
	v_add_co_ci_u32_e32 v5, vcc_lo, v32, v5, vcc_lo
	v_lshlrev_b64 v[29:30], 4, v[7:8]
	v_add_nc_u32_e32 v7, 0x6f6, v52
	v_add_co_u32 v27, vcc_lo, v31, v27
	v_add_co_ci_u32_e32 v28, vcc_lo, v32, v28, vcc_lo
	v_lshlrev_b64 v[6:7], 4, v[7:8]
	v_add_co_u32 v29, vcc_lo, v31, v29
	v_add_co_ci_u32_e32 v30, vcc_lo, v32, v30, vcc_lo
	v_add_co_u32 v6, vcc_lo, v31, v6
	v_add_co_ci_u32_e32 v7, vcc_lo, v32, v7, vcc_lo
	s_waitcnt lgkmcnt(4)
	global_store_dwordx4 v[25:26], v[0:3], off
	s_waitcnt lgkmcnt(3)
	global_store_dwordx4 v[4:5], v[9:12], off
	;; [unrolled: 2-line block ×5, first 2 shown]
.LBB0_31:
	s_endpgm
	.section	.rodata,"a",@progbits
	.p2align	6, 0x0
	.amdhsa_kernel fft_rtc_fwd_len1980_factors_11_2_3_3_5_2_wgs_198_tpt_198_halfLds_dp_op_CI_CI_unitstride_sbrr_C2R_dirReg
		.amdhsa_group_segment_fixed_size 0
		.amdhsa_private_segment_fixed_size 0
		.amdhsa_kernarg_size 104
		.amdhsa_user_sgpr_count 6
		.amdhsa_user_sgpr_private_segment_buffer 1
		.amdhsa_user_sgpr_dispatch_ptr 0
		.amdhsa_user_sgpr_queue_ptr 0
		.amdhsa_user_sgpr_kernarg_segment_ptr 1
		.amdhsa_user_sgpr_dispatch_id 0
		.amdhsa_user_sgpr_flat_scratch_init 0
		.amdhsa_user_sgpr_private_segment_size 0
		.amdhsa_wavefront_size32 1
		.amdhsa_uses_dynamic_stack 0
		.amdhsa_system_sgpr_private_segment_wavefront_offset 0
		.amdhsa_system_sgpr_workgroup_id_x 1
		.amdhsa_system_sgpr_workgroup_id_y 0
		.amdhsa_system_sgpr_workgroup_id_z 0
		.amdhsa_system_sgpr_workgroup_info 0
		.amdhsa_system_vgpr_workitem_id 0
		.amdhsa_next_free_vgpr 174
		.amdhsa_next_free_sgpr 38
		.amdhsa_reserve_vcc 1
		.amdhsa_reserve_flat_scratch 0
		.amdhsa_float_round_mode_32 0
		.amdhsa_float_round_mode_16_64 0
		.amdhsa_float_denorm_mode_32 3
		.amdhsa_float_denorm_mode_16_64 3
		.amdhsa_dx10_clamp 1
		.amdhsa_ieee_mode 1
		.amdhsa_fp16_overflow 0
		.amdhsa_workgroup_processor_mode 1
		.amdhsa_memory_ordered 1
		.amdhsa_forward_progress 0
		.amdhsa_shared_vgpr_count 0
		.amdhsa_exception_fp_ieee_invalid_op 0
		.amdhsa_exception_fp_denorm_src 0
		.amdhsa_exception_fp_ieee_div_zero 0
		.amdhsa_exception_fp_ieee_overflow 0
		.amdhsa_exception_fp_ieee_underflow 0
		.amdhsa_exception_fp_ieee_inexact 0
		.amdhsa_exception_int_div_zero 0
	.end_amdhsa_kernel
	.text
.Lfunc_end0:
	.size	fft_rtc_fwd_len1980_factors_11_2_3_3_5_2_wgs_198_tpt_198_halfLds_dp_op_CI_CI_unitstride_sbrr_C2R_dirReg, .Lfunc_end0-fft_rtc_fwd_len1980_factors_11_2_3_3_5_2_wgs_198_tpt_198_halfLds_dp_op_CI_CI_unitstride_sbrr_C2R_dirReg
                                        ; -- End function
	.section	.AMDGPU.csdata,"",@progbits
; Kernel info:
; codeLenInByte = 12124
; NumSgprs: 40
; NumVgprs: 174
; ScratchSize: 0
; MemoryBound: 0
; FloatMode: 240
; IeeeMode: 1
; LDSByteSize: 0 bytes/workgroup (compile time only)
; SGPRBlocks: 4
; VGPRBlocks: 21
; NumSGPRsForWavesPerEU: 40
; NumVGPRsForWavesPerEU: 174
; Occupancy: 5
; WaveLimiterHint : 1
; COMPUTE_PGM_RSRC2:SCRATCH_EN: 0
; COMPUTE_PGM_RSRC2:USER_SGPR: 6
; COMPUTE_PGM_RSRC2:TRAP_HANDLER: 0
; COMPUTE_PGM_RSRC2:TGID_X_EN: 1
; COMPUTE_PGM_RSRC2:TGID_Y_EN: 0
; COMPUTE_PGM_RSRC2:TGID_Z_EN: 0
; COMPUTE_PGM_RSRC2:TIDIG_COMP_CNT: 0
	.text
	.p2alignl 6, 3214868480
	.fill 48, 4, 3214868480
	.type	__hip_cuid_ae1466b17f664b7a,@object ; @__hip_cuid_ae1466b17f664b7a
	.section	.bss,"aw",@nobits
	.globl	__hip_cuid_ae1466b17f664b7a
__hip_cuid_ae1466b17f664b7a:
	.byte	0                               ; 0x0
	.size	__hip_cuid_ae1466b17f664b7a, 1

	.ident	"AMD clang version 19.0.0git (https://github.com/RadeonOpenCompute/llvm-project roc-6.4.0 25133 c7fe45cf4b819c5991fe208aaa96edf142730f1d)"
	.section	".note.GNU-stack","",@progbits
	.addrsig
	.addrsig_sym __hip_cuid_ae1466b17f664b7a
	.amdgpu_metadata
---
amdhsa.kernels:
  - .args:
      - .actual_access:  read_only
        .address_space:  global
        .offset:         0
        .size:           8
        .value_kind:     global_buffer
      - .offset:         8
        .size:           8
        .value_kind:     by_value
      - .actual_access:  read_only
        .address_space:  global
        .offset:         16
        .size:           8
        .value_kind:     global_buffer
      - .actual_access:  read_only
        .address_space:  global
        .offset:         24
        .size:           8
        .value_kind:     global_buffer
      - .actual_access:  read_only
        .address_space:  global
        .offset:         32
        .size:           8
        .value_kind:     global_buffer
      - .offset:         40
        .size:           8
        .value_kind:     by_value
      - .actual_access:  read_only
        .address_space:  global
        .offset:         48
        .size:           8
        .value_kind:     global_buffer
      - .actual_access:  read_only
        .address_space:  global
        .offset:         56
        .size:           8
        .value_kind:     global_buffer
      - .offset:         64
        .size:           4
        .value_kind:     by_value
      - .actual_access:  read_only
        .address_space:  global
        .offset:         72
        .size:           8
        .value_kind:     global_buffer
      - .actual_access:  read_only
        .address_space:  global
        .offset:         80
        .size:           8
        .value_kind:     global_buffer
      - .actual_access:  read_only
        .address_space:  global
        .offset:         88
        .size:           8
        .value_kind:     global_buffer
      - .actual_access:  write_only
        .address_space:  global
        .offset:         96
        .size:           8
        .value_kind:     global_buffer
    .group_segment_fixed_size: 0
    .kernarg_segment_align: 8
    .kernarg_segment_size: 104
    .language:       OpenCL C
    .language_version:
      - 2
      - 0
    .max_flat_workgroup_size: 198
    .name:           fft_rtc_fwd_len1980_factors_11_2_3_3_5_2_wgs_198_tpt_198_halfLds_dp_op_CI_CI_unitstride_sbrr_C2R_dirReg
    .private_segment_fixed_size: 0
    .sgpr_count:     40
    .sgpr_spill_count: 0
    .symbol:         fft_rtc_fwd_len1980_factors_11_2_3_3_5_2_wgs_198_tpt_198_halfLds_dp_op_CI_CI_unitstride_sbrr_C2R_dirReg.kd
    .uniform_work_group_size: 1
    .uses_dynamic_stack: false
    .vgpr_count:     174
    .vgpr_spill_count: 0
    .wavefront_size: 32
    .workgroup_processor_mode: 1
amdhsa.target:   amdgcn-amd-amdhsa--gfx1030
amdhsa.version:
  - 1
  - 2
...

	.end_amdgpu_metadata
